;; amdgpu-corpus repo=zjin-lcf/HeCBench kind=compiled arch=gfx1250 opt=O3
	.amdgcn_target "amdgcn-amd-amdhsa--gfx1250"
	.amdhsa_code_object_version 6
	.section	.text._Z12cross_kernelIfiEviPT_PKS0_S3_T0_S4_S4_,"axG",@progbits,_Z12cross_kernelIfiEviPT_PKS0_S3_T0_S4_S4_,comdat
	.protected	_Z12cross_kernelIfiEviPT_PKS0_S3_T0_S4_S4_ ; -- Begin function _Z12cross_kernelIfiEviPT_PKS0_S3_T0_S4_S4_
	.globl	_Z12cross_kernelIfiEviPT_PKS0_S3_T0_S4_S4_
	.p2align	8
	.type	_Z12cross_kernelIfiEviPT_PKS0_S3_T0_S4_S4_,@function
_Z12cross_kernelIfiEviPT_PKS0_S3_T0_S4_S4_: ; @_Z12cross_kernelIfiEviPT_PKS0_S3_T0_S4_S4_
; %bb.0:
	s_clause 0x1
	s_load_b32 s2, s[0:1], 0x3c
	s_load_b32 s18, s[0:1], 0x0
	s_bfe_u32 s3, ttmp6, 0x4000c
	s_and_b32 s4, ttmp6, 15
	s_add_co_i32 s3, s3, 1
	s_getreg_b32 s5, hwreg(HW_REG_IB_STS2, 6, 4)
	s_mul_i32 s3, ttmp9, s3
	s_mov_b32 s19, 0
	s_add_co_i32 s4, s4, s3
	s_wait_kmcnt 0x0
	s_and_b32 s11, s2, 0xffff
	s_cmp_eq_u32 s5, 0
	s_cselect_b32 s2, ttmp9, s4
	s_delay_alu instid0(SALU_CYCLE_1) | instskip(SKIP_1) | instid1(VALU_DEP_1)
	v_mad_u32 v2, s2, s11, v0
	s_mov_b32 s2, exec_lo
	v_cmpx_gt_i32_e64 s18, v2
	s_cbranch_execz .LBB0_3
; %bb.1:
	s_load_b96 s[8:10], s[0:1], 0x20
	s_add_nc_u64 s[12:13], s[0:1], 48
	s_load_b32 s20, s[12:13], 0x0
	s_clause 0x1
	s_load_b128 s[4:7], s[0:1], 0x8
	s_load_b64 s[2:3], s[0:1], 0x18
	v_lshl_add_u32 v0, v2, 1, v2
	s_wait_kmcnt 0x0
	s_ashr_i32 s15, s10, 31
	s_mov_b32 s14, s10
	s_ashr_i32 s1, s9, 31
	s_mov_b32 s0, s9
	s_lshl_b32 s12, s10, 1
	s_ashr_i32 s9, s8, 31
	s_mul_i32 s20, s20, s11
	s_lshl_b64 s[16:17], s[14:15], 2
	s_ashr_i32 s13, s12, 31
	s_lshl_b64 s[10:11], s[0:1], 2
	s_lshl_b64 s[14:15], s[8:9], 2
	s_sub_nc_u64 s[16:17], 0, s[16:17]
	s_mul_i32 s21, s20, 3
.LBB0_2:                                ; =>This Inner Loop Header: Depth=1
	v_dual_ashrrev_i32 v1, 31, v0 :: v_dual_add_nc_u32 v2, s20, v2
	s_delay_alu instid0(VALU_DEP_1) | instskip(NEXT) | instid1(VALU_DEP_2)
	v_lshlrev_b64_e32 v[4:5], 2, v[0:1]
	v_cmp_le_i32_e32 vcc_lo, s18, v2
	s_or_b32 s19, vcc_lo, s19
	s_delay_alu instid0(VALU_DEP_2) | instskip(SKIP_2) | instid1(VALU_DEP_3)
	v_add_nc_u64_e32 v[6:7], s[6:7], v[4:5]
	v_add_nc_u64_e32 v[8:9], s[2:3], v[4:5]
	;; [unrolled: 1-line block ×3, first 2 shown]
	v_lshl_add_u64 v[6:7], s[0:1], 2, v[6:7]
	s_delay_alu instid0(VALU_DEP_3) | instskip(NEXT) | instid1(VALU_DEP_3)
	v_lshl_add_u64 v[8:9], s[12:13], 2, v[8:9]
	v_lshl_add_u64 v[4:5], s[8:9], 2, v[4:5]
	s_delay_alu instid0(VALU_DEP_3) | instskip(NEXT) | instid1(VALU_DEP_3)
	v_add_nc_u64_e32 v[10:11], s[10:11], v[6:7]
	v_add_nc_u64_e32 v[12:13], s[16:17], v[8:9]
	global_load_b32 v1, v[10:11], off
	s_clause 0x2
	global_load_b32 v3, v[12:13], off
	global_load_b32 v14, v0, s[2:3] scale_offset
	global_load_b32 v15, v0, s[6:7] scale_offset
	global_load_b32 v16, v[8:9], off
	global_load_b32 v17, v[6:7], off
	s_wait_loadcnt 0x0
	s_wait_xcnt 0x1
	v_dual_mul_f32 v8, v16, v15 :: v_dual_mul_f32 v9, v17, v14
	s_wait_xcnt 0x0
	s_delay_alu instid0(VALU_DEP_1) | instskip(NEXT) | instid1(VALU_DEP_1)
	v_dual_mul_f32 v6, v1, v3 :: v_dual_fma_f32 v1, v1, v14, -v8
	v_dual_fma_f32 v3, v3, v15, -v9 :: v_dual_fma_f32 v10, v17, v16, -v6
	v_add_nc_u64_e32 v[6:7], s[14:15], v[4:5]
	global_store_b32 v0, v10, s[4:5] scale_offset
	s_wait_xcnt 0x0
	v_add_nc_u32_e32 v0, s21, v0
	s_clause 0x1
	global_store_b32 v[4:5], v1, off
	global_store_b32 v[6:7], v3, off
	s_wait_xcnt 0x0
	s_and_not1_b32 exec_lo, exec_lo, s19
	s_cbranch_execnz .LBB0_2
.LBB0_3:
	s_endpgm
	.section	.rodata,"a",@progbits
	.p2align	6, 0x0
	.amdhsa_kernel _Z12cross_kernelIfiEviPT_PKS0_S3_T0_S4_S4_
		.amdhsa_group_segment_fixed_size 0
		.amdhsa_private_segment_fixed_size 0
		.amdhsa_kernarg_size 304
		.amdhsa_user_sgpr_count 2
		.amdhsa_user_sgpr_dispatch_ptr 0
		.amdhsa_user_sgpr_queue_ptr 0
		.amdhsa_user_sgpr_kernarg_segment_ptr 1
		.amdhsa_user_sgpr_dispatch_id 0
		.amdhsa_user_sgpr_kernarg_preload_length 0
		.amdhsa_user_sgpr_kernarg_preload_offset 0
		.amdhsa_user_sgpr_private_segment_size 0
		.amdhsa_wavefront_size32 1
		.amdhsa_uses_dynamic_stack 0
		.amdhsa_enable_private_segment 0
		.amdhsa_system_sgpr_workgroup_id_x 1
		.amdhsa_system_sgpr_workgroup_id_y 0
		.amdhsa_system_sgpr_workgroup_id_z 0
		.amdhsa_system_sgpr_workgroup_info 0
		.amdhsa_system_vgpr_workitem_id 0
		.amdhsa_next_free_vgpr 18
		.amdhsa_next_free_sgpr 22
		.amdhsa_named_barrier_count 0
		.amdhsa_reserve_vcc 1
		.amdhsa_float_round_mode_32 0
		.amdhsa_float_round_mode_16_64 0
		.amdhsa_float_denorm_mode_32 3
		.amdhsa_float_denorm_mode_16_64 3
		.amdhsa_fp16_overflow 0
		.amdhsa_memory_ordered 1
		.amdhsa_forward_progress 1
		.amdhsa_inst_pref_size 4
		.amdhsa_round_robin_scheduling 0
		.amdhsa_exception_fp_ieee_invalid_op 0
		.amdhsa_exception_fp_denorm_src 0
		.amdhsa_exception_fp_ieee_div_zero 0
		.amdhsa_exception_fp_ieee_overflow 0
		.amdhsa_exception_fp_ieee_underflow 0
		.amdhsa_exception_fp_ieee_inexact 0
		.amdhsa_exception_int_div_zero 0
	.end_amdhsa_kernel
	.section	.text._Z12cross_kernelIfiEviPT_PKS0_S3_T0_S4_S4_,"axG",@progbits,_Z12cross_kernelIfiEviPT_PKS0_S3_T0_S4_S4_,comdat
.Lfunc_end0:
	.size	_Z12cross_kernelIfiEviPT_PKS0_S3_T0_S4_S4_, .Lfunc_end0-_Z12cross_kernelIfiEviPT_PKS0_S3_T0_S4_S4_
                                        ; -- End function
	.set _Z12cross_kernelIfiEviPT_PKS0_S3_T0_S4_S4_.num_vgpr, 18
	.set _Z12cross_kernelIfiEviPT_PKS0_S3_T0_S4_S4_.num_agpr, 0
	.set _Z12cross_kernelIfiEviPT_PKS0_S3_T0_S4_S4_.numbered_sgpr, 22
	.set _Z12cross_kernelIfiEviPT_PKS0_S3_T0_S4_S4_.num_named_barrier, 0
	.set _Z12cross_kernelIfiEviPT_PKS0_S3_T0_S4_S4_.private_seg_size, 0
	.set _Z12cross_kernelIfiEviPT_PKS0_S3_T0_S4_S4_.uses_vcc, 1
	.set _Z12cross_kernelIfiEviPT_PKS0_S3_T0_S4_S4_.uses_flat_scratch, 0
	.set _Z12cross_kernelIfiEviPT_PKS0_S3_T0_S4_S4_.has_dyn_sized_stack, 0
	.set _Z12cross_kernelIfiEviPT_PKS0_S3_T0_S4_S4_.has_recursion, 0
	.set _Z12cross_kernelIfiEviPT_PKS0_S3_T0_S4_S4_.has_indirect_call, 0
	.section	.AMDGPU.csdata,"",@progbits
; Kernel info:
; codeLenInByte = 480
; TotalNumSgprs: 24
; NumVgprs: 18
; ScratchSize: 0
; MemoryBound: 0
; FloatMode: 240
; IeeeMode: 1
; LDSByteSize: 0 bytes/workgroup (compile time only)
; SGPRBlocks: 0
; VGPRBlocks: 1
; NumSGPRsForWavesPerEU: 24
; NumVGPRsForWavesPerEU: 18
; NamedBarCnt: 0
; Occupancy: 16
; WaveLimiterHint : 0
; COMPUTE_PGM_RSRC2:SCRATCH_EN: 0
; COMPUTE_PGM_RSRC2:USER_SGPR: 2
; COMPUTE_PGM_RSRC2:TRAP_HANDLER: 0
; COMPUTE_PGM_RSRC2:TGID_X_EN: 1
; COMPUTE_PGM_RSRC2:TGID_Y_EN: 0
; COMPUTE_PGM_RSRC2:TGID_Z_EN: 0
; COMPUTE_PGM_RSRC2:TIDIG_COMP_CNT: 0
	.section	.text._Z13cross2_kernelIfiEviPT_PKS0_S3_T0_S4_S4_,"axG",@progbits,_Z13cross2_kernelIfiEviPT_PKS0_S3_T0_S4_S4_,comdat
	.protected	_Z13cross2_kernelIfiEviPT_PKS0_S3_T0_S4_S4_ ; -- Begin function _Z13cross2_kernelIfiEviPT_PKS0_S3_T0_S4_S4_
	.globl	_Z13cross2_kernelIfiEviPT_PKS0_S3_T0_S4_S4_
	.p2align	8
	.type	_Z13cross2_kernelIfiEviPT_PKS0_S3_T0_S4_S4_,@function
_Z13cross2_kernelIfiEviPT_PKS0_S3_T0_S4_S4_: ; @_Z13cross2_kernelIfiEviPT_PKS0_S3_T0_S4_S4_
; %bb.0:
	s_clause 0x1
	s_load_b32 s2, s[0:1], 0x3c
	s_load_b32 s18, s[0:1], 0x0
	s_bfe_u32 s3, ttmp6, 0x4000c
	s_and_b32 s4, ttmp6, 15
	s_add_co_i32 s3, s3, 1
	s_getreg_b32 s5, hwreg(HW_REG_IB_STS2, 6, 4)
	s_mul_i32 s3, ttmp9, s3
	s_mov_b32 s19, 0
	s_add_co_i32 s4, s4, s3
	s_wait_kmcnt 0x0
	s_and_b32 s12, s2, 0xffff
	s_cmp_eq_u32 s5, 0
	s_cselect_b32 s2, ttmp9, s4
	s_delay_alu instid0(SALU_CYCLE_1) | instskip(SKIP_1) | instid1(VALU_DEP_1)
	v_mad_u32 v2, s2, s12, v0
	s_mov_b32 s2, exec_lo
	v_cmpx_gt_i32_e64 s18, v2
	s_cbranch_execz .LBB1_3
; %bb.1:
	s_load_b96 s[8:10], s[0:1], 0x20
	s_add_nc_u64 s[14:15], s[0:1], 48
	s_load_b32 s20, s[14:15], 0x0
	s_clause 0x1
	s_load_b128 s[4:7], s[0:1], 0x8
	s_load_b64 s[2:3], s[0:1], 0x18
	v_lshl_add_u32 v0, v2, 1, v2
	s_wait_kmcnt 0x0
	s_ashr_i32 s1, s9, 31
	s_mov_b32 s0, s9
	s_ashr_i32 s11, s10, 31
	s_ashr_i32 s9, s8, 31
	s_mul_i32 s20, s20, s12
	s_lshl_b64 s[12:13], s[0:1], 2
	s_lshl_b64 s[14:15], s[10:11], 2
	;; [unrolled: 1-line block ×3, first 2 shown]
	s_mul_i32 s21, s20, 3
.LBB1_2:                                ; =>This Inner Loop Header: Depth=1
	v_dual_ashrrev_i32 v1, 31, v0 :: v_dual_add_nc_u32 v2, s20, v2
	s_delay_alu instid0(VALU_DEP_1) | instskip(NEXT) | instid1(VALU_DEP_2)
	v_lshlrev_b64_e32 v[4:5], 2, v[0:1]
	v_cmp_le_i32_e32 vcc_lo, s18, v2
	s_or_b32 s19, vcc_lo, s19
	s_delay_alu instid0(VALU_DEP_2) | instskip(SKIP_2) | instid1(VALU_DEP_3)
	v_add_nc_u64_e32 v[6:7], s[6:7], v[4:5]
	v_add_nc_u64_e32 v[8:9], s[2:3], v[4:5]
	;; [unrolled: 1-line block ×3, first 2 shown]
	v_lshl_add_u64 v[6:7], s[0:1], 2, v[6:7]
	s_delay_alu instid0(VALU_DEP_3) | instskip(NEXT) | instid1(VALU_DEP_3)
	v_lshl_add_u64 v[8:9], s[10:11], 2, v[8:9]
	v_lshl_add_u64 v[4:5], s[8:9], 2, v[4:5]
	s_delay_alu instid0(VALU_DEP_3) | instskip(NEXT) | instid1(VALU_DEP_3)
	v_add_nc_u64_e32 v[10:11], s[12:13], v[6:7]
	v_add_nc_u64_e32 v[12:13], s[14:15], v[8:9]
	global_load_b32 v1, v[8:9], off
	s_clause 0x4
	global_load_b32 v3, v[10:11], off
	global_load_b32 v14, v[6:7], off
	global_load_b32 v15, v0, s[6:7] scale_offset
	global_load_b32 v16, v0, s[2:3] scale_offset
	global_load_b32 v17, v[12:13], off
	s_wait_loadcnt 0x1
	s_wait_xcnt 0x3
	v_dual_mul_f32 v6, v3, v1 :: v_dual_mul_f32 v8, v14, v16
	s_wait_loadcnt 0x0
	s_delay_alu instid0(VALU_DEP_1) | instskip(SKIP_1) | instid1(VALU_DEP_3)
	v_dual_mul_f32 v9, v15, v17 :: v_dual_fma_f32 v10, v14, v17, -v6
	v_add_nc_u64_e32 v[6:7], s[16:17], v[4:5]
	v_fma_f32 v1, v15, v1, -v8
	s_delay_alu instid0(VALU_DEP_3)
	v_fma_f32 v3, v3, v16, -v9
	global_store_b32 v0, v10, s[4:5] scale_offset
	s_wait_xcnt 0x0
	v_add_nc_u32_e32 v0, s21, v0
	s_clause 0x1
	global_store_b32 v[4:5], v3, off
	global_store_b32 v[6:7], v1, off
	s_wait_xcnt 0x0
	s_and_not1_b32 exec_lo, exec_lo, s19
	s_cbranch_execnz .LBB1_2
.LBB1_3:
	s_endpgm
	.section	.rodata,"a",@progbits
	.p2align	6, 0x0
	.amdhsa_kernel _Z13cross2_kernelIfiEviPT_PKS0_S3_T0_S4_S4_
		.amdhsa_group_segment_fixed_size 0
		.amdhsa_private_segment_fixed_size 0
		.amdhsa_kernarg_size 304
		.amdhsa_user_sgpr_count 2
		.amdhsa_user_sgpr_dispatch_ptr 0
		.amdhsa_user_sgpr_queue_ptr 0
		.amdhsa_user_sgpr_kernarg_segment_ptr 1
		.amdhsa_user_sgpr_dispatch_id 0
		.amdhsa_user_sgpr_kernarg_preload_length 0
		.amdhsa_user_sgpr_kernarg_preload_offset 0
		.amdhsa_user_sgpr_private_segment_size 0
		.amdhsa_wavefront_size32 1
		.amdhsa_uses_dynamic_stack 0
		.amdhsa_enable_private_segment 0
		.amdhsa_system_sgpr_workgroup_id_x 1
		.amdhsa_system_sgpr_workgroup_id_y 0
		.amdhsa_system_sgpr_workgroup_id_z 0
		.amdhsa_system_sgpr_workgroup_info 0
		.amdhsa_system_vgpr_workitem_id 0
		.amdhsa_next_free_vgpr 18
		.amdhsa_next_free_sgpr 22
		.amdhsa_named_barrier_count 0
		.amdhsa_reserve_vcc 1
		.amdhsa_float_round_mode_32 0
		.amdhsa_float_round_mode_16_64 0
		.amdhsa_float_denorm_mode_32 3
		.amdhsa_float_denorm_mode_16_64 3
		.amdhsa_fp16_overflow 0
		.amdhsa_memory_ordered 1
		.amdhsa_forward_progress 1
		.amdhsa_inst_pref_size 4
		.amdhsa_round_robin_scheduling 0
		.amdhsa_exception_fp_ieee_invalid_op 0
		.amdhsa_exception_fp_denorm_src 0
		.amdhsa_exception_fp_ieee_div_zero 0
		.amdhsa_exception_fp_ieee_overflow 0
		.amdhsa_exception_fp_ieee_underflow 0
		.amdhsa_exception_fp_ieee_inexact 0
		.amdhsa_exception_int_div_zero 0
	.end_amdhsa_kernel
	.section	.text._Z13cross2_kernelIfiEviPT_PKS0_S3_T0_S4_S4_,"axG",@progbits,_Z13cross2_kernelIfiEviPT_PKS0_S3_T0_S4_S4_,comdat
.Lfunc_end1:
	.size	_Z13cross2_kernelIfiEviPT_PKS0_S3_T0_S4_S4_, .Lfunc_end1-_Z13cross2_kernelIfiEviPT_PKS0_S3_T0_S4_S4_
                                        ; -- End function
	.set _Z13cross2_kernelIfiEviPT_PKS0_S3_T0_S4_S4_.num_vgpr, 18
	.set _Z13cross2_kernelIfiEviPT_PKS0_S3_T0_S4_S4_.num_agpr, 0
	.set _Z13cross2_kernelIfiEviPT_PKS0_S3_T0_S4_S4_.numbered_sgpr, 22
	.set _Z13cross2_kernelIfiEviPT_PKS0_S3_T0_S4_S4_.num_named_barrier, 0
	.set _Z13cross2_kernelIfiEviPT_PKS0_S3_T0_S4_S4_.private_seg_size, 0
	.set _Z13cross2_kernelIfiEviPT_PKS0_S3_T0_S4_S4_.uses_vcc, 1
	.set _Z13cross2_kernelIfiEviPT_PKS0_S3_T0_S4_S4_.uses_flat_scratch, 0
	.set _Z13cross2_kernelIfiEviPT_PKS0_S3_T0_S4_S4_.has_dyn_sized_stack, 0
	.set _Z13cross2_kernelIfiEviPT_PKS0_S3_T0_S4_S4_.has_recursion, 0
	.set _Z13cross2_kernelIfiEviPT_PKS0_S3_T0_S4_S4_.has_indirect_call, 0
	.section	.AMDGPU.csdata,"",@progbits
; Kernel info:
; codeLenInByte = 476
; TotalNumSgprs: 24
; NumVgprs: 18
; ScratchSize: 0
; MemoryBound: 0
; FloatMode: 240
; IeeeMode: 1
; LDSByteSize: 0 bytes/workgroup (compile time only)
; SGPRBlocks: 0
; VGPRBlocks: 1
; NumSGPRsForWavesPerEU: 24
; NumVGPRsForWavesPerEU: 18
; NamedBarCnt: 0
; Occupancy: 16
; WaveLimiterHint : 0
; COMPUTE_PGM_RSRC2:SCRATCH_EN: 0
; COMPUTE_PGM_RSRC2:USER_SGPR: 2
; COMPUTE_PGM_RSRC2:TRAP_HANDLER: 0
; COMPUTE_PGM_RSRC2:TGID_X_EN: 1
; COMPUTE_PGM_RSRC2:TGID_Y_EN: 0
; COMPUTE_PGM_RSRC2:TGID_Z_EN: 0
; COMPUTE_PGM_RSRC2:TIDIG_COMP_CNT: 0
	.section	.text._Z13cross3_kernelIfEviPT_PKS0_S3_,"axG",@progbits,_Z13cross3_kernelIfEviPT_PKS0_S3_,comdat
	.protected	_Z13cross3_kernelIfEviPT_PKS0_S3_ ; -- Begin function _Z13cross3_kernelIfEviPT_PKS0_S3_
	.globl	_Z13cross3_kernelIfEviPT_PKS0_S3_
	.p2align	8
	.type	_Z13cross3_kernelIfEviPT_PKS0_S3_,@function
_Z13cross3_kernelIfEviPT_PKS0_S3_:      ; @_Z13cross3_kernelIfEviPT_PKS0_S3_
; %bb.0:
	s_clause 0x1
	s_load_b32 s2, s[0:1], 0x2c
	s_load_b32 s8, s[0:1], 0x0
	s_bfe_u32 s3, ttmp6, 0x4000c
	s_and_b32 s4, ttmp6, 15
	s_add_co_i32 s3, s3, 1
	s_getreg_b32 s5, hwreg(HW_REG_IB_STS2, 6, 4)
	s_mul_i32 s3, ttmp9, s3
	s_mov_b32 s9, 0
	s_add_co_i32 s4, s4, s3
	s_wait_kmcnt 0x0
	s_and_b32 s10, s2, 0xffff
	s_cmp_eq_u32 s5, 0
	s_cselect_b32 s2, ttmp9, s4
	s_delay_alu instid0(SALU_CYCLE_1) | instskip(SKIP_1) | instid1(VALU_DEP_1)
	v_mad_u32 v2, s2, s10, v0
	s_mov_b32 s2, exec_lo
	v_cmpx_gt_i32_e64 s8, v2
	s_cbranch_execz .LBB2_3
; %bb.1:
	s_add_nc_u64 s[12:13], s[0:1], 32
	v_lshl_add_u32 v0, v2, 1, v2
	s_load_b32 s11, s[12:13], 0x0
	s_clause 0x1
	s_load_b128 s[4:7], s[0:1], 0x8
	s_load_b64 s[2:3], s[0:1], 0x18
	s_wait_kmcnt 0x0
	s_mul_i32 s0, s11, s10
	s_delay_alu instid0(SALU_CYCLE_1)
	s_mul_i32 s1, s0, 3
.LBB2_2:                                ; =>This Inner Loop Header: Depth=1
	v_dual_ashrrev_i32 v1, 31, v0 :: v_dual_add_nc_u32 v2, s0, v2
	s_delay_alu instid0(VALU_DEP_1) | instskip(NEXT) | instid1(VALU_DEP_2)
	v_lshlrev_b64_e32 v[12:13], 2, v[0:1]
	v_cmp_le_i32_e32 vcc_lo, s8, v2
	v_add_nc_u32_e32 v0, s1, v0
	s_or_b32 s9, vcc_lo, s9
	s_delay_alu instid0(VALU_DEP_3)
	v_add_nc_u64_e32 v[14:15], s[2:3], v[12:13]
	v_add_nc_u64_e32 v[16:17], s[6:7], v[12:13]
	global_load_b96 v[4:6], v[14:15], off
	global_load_b96 v[8:10], v[16:17], off
	v_add_nc_u64_e32 v[12:13], s[4:5], v[12:13]
	s_wait_loadcnt 0x1
	s_wait_xcnt 0x1
	v_dual_mov_b32 v14, v5 :: v_dual_mov_b32 v15, v6
	s_wait_loadcnt 0x0
	s_wait_xcnt 0x0
	v_dual_mov_b32 v16, v10 :: v_dual_mov_b32 v17, v8
	v_dual_mov_b32 v18, v9 :: v_dual_mov_b32 v19, v10
	v_dual_mov_b32 v7, v4 :: v_dual_mul_f32 v1, v9, v4
	s_delay_alu instid0(VALU_DEP_3) | instskip(NEXT) | instid1(VALU_DEP_2)
	v_pk_mul_f32 v[10:11], v[16:17], v[14:15]
	v_fma_f32 v8, v8, v5, -v1
	s_delay_alu instid0(VALU_DEP_2)
	v_pk_fma_f32 v[6:7], v[18:19], v[6:7], v[10:11] neg_lo:[0,0,1] neg_hi:[0,0,1]
	global_store_b96 v[12:13], v[6:8], off
	s_wait_xcnt 0x0
	s_and_not1_b32 exec_lo, exec_lo, s9
	s_cbranch_execnz .LBB2_2
.LBB2_3:
	s_endpgm
	.section	.rodata,"a",@progbits
	.p2align	6, 0x0
	.amdhsa_kernel _Z13cross3_kernelIfEviPT_PKS0_S3_
		.amdhsa_group_segment_fixed_size 0
		.amdhsa_private_segment_fixed_size 0
		.amdhsa_kernarg_size 288
		.amdhsa_user_sgpr_count 2
		.amdhsa_user_sgpr_dispatch_ptr 0
		.amdhsa_user_sgpr_queue_ptr 0
		.amdhsa_user_sgpr_kernarg_segment_ptr 1
		.amdhsa_user_sgpr_dispatch_id 0
		.amdhsa_user_sgpr_kernarg_preload_length 0
		.amdhsa_user_sgpr_kernarg_preload_offset 0
		.amdhsa_user_sgpr_private_segment_size 0
		.amdhsa_wavefront_size32 1
		.amdhsa_uses_dynamic_stack 0
		.amdhsa_enable_private_segment 0
		.amdhsa_system_sgpr_workgroup_id_x 1
		.amdhsa_system_sgpr_workgroup_id_y 0
		.amdhsa_system_sgpr_workgroup_id_z 0
		.amdhsa_system_sgpr_workgroup_info 0
		.amdhsa_system_vgpr_workitem_id 0
		.amdhsa_next_free_vgpr 20
		.amdhsa_next_free_sgpr 14
		.amdhsa_named_barrier_count 0
		.amdhsa_reserve_vcc 1
		.amdhsa_float_round_mode_32 0
		.amdhsa_float_round_mode_16_64 0
		.amdhsa_float_denorm_mode_32 3
		.amdhsa_float_denorm_mode_16_64 3
		.amdhsa_fp16_overflow 0
		.amdhsa_memory_ordered 1
		.amdhsa_forward_progress 1
		.amdhsa_inst_pref_size 3
		.amdhsa_round_robin_scheduling 0
		.amdhsa_exception_fp_ieee_invalid_op 0
		.amdhsa_exception_fp_denorm_src 0
		.amdhsa_exception_fp_ieee_div_zero 0
		.amdhsa_exception_fp_ieee_overflow 0
		.amdhsa_exception_fp_ieee_underflow 0
		.amdhsa_exception_fp_ieee_inexact 0
		.amdhsa_exception_int_div_zero 0
	.end_amdhsa_kernel
	.section	.text._Z13cross3_kernelIfEviPT_PKS0_S3_,"axG",@progbits,_Z13cross3_kernelIfEviPT_PKS0_S3_,comdat
.Lfunc_end2:
	.size	_Z13cross3_kernelIfEviPT_PKS0_S3_, .Lfunc_end2-_Z13cross3_kernelIfEviPT_PKS0_S3_
                                        ; -- End function
	.set _Z13cross3_kernelIfEviPT_PKS0_S3_.num_vgpr, 20
	.set _Z13cross3_kernelIfEviPT_PKS0_S3_.num_agpr, 0
	.set _Z13cross3_kernelIfEviPT_PKS0_S3_.numbered_sgpr, 14
	.set _Z13cross3_kernelIfEviPT_PKS0_S3_.num_named_barrier, 0
	.set _Z13cross3_kernelIfEviPT_PKS0_S3_.private_seg_size, 0
	.set _Z13cross3_kernelIfEviPT_PKS0_S3_.uses_vcc, 1
	.set _Z13cross3_kernelIfEviPT_PKS0_S3_.uses_flat_scratch, 0
	.set _Z13cross3_kernelIfEviPT_PKS0_S3_.has_dyn_sized_stack, 0
	.set _Z13cross3_kernelIfEviPT_PKS0_S3_.has_recursion, 0
	.set _Z13cross3_kernelIfEviPT_PKS0_S3_.has_indirect_call, 0
	.section	.AMDGPU.csdata,"",@progbits
; Kernel info:
; codeLenInByte = 340
; TotalNumSgprs: 16
; NumVgprs: 20
; ScratchSize: 0
; MemoryBound: 0
; FloatMode: 240
; IeeeMode: 1
; LDSByteSize: 0 bytes/workgroup (compile time only)
; SGPRBlocks: 0
; VGPRBlocks: 1
; NumSGPRsForWavesPerEU: 16
; NumVGPRsForWavesPerEU: 20
; NamedBarCnt: 0
; Occupancy: 16
; WaveLimiterHint : 0
; COMPUTE_PGM_RSRC2:SCRATCH_EN: 0
; COMPUTE_PGM_RSRC2:USER_SGPR: 2
; COMPUTE_PGM_RSRC2:TRAP_HANDLER: 0
; COMPUTE_PGM_RSRC2:TGID_X_EN: 1
; COMPUTE_PGM_RSRC2:TGID_Y_EN: 0
; COMPUTE_PGM_RSRC2:TGID_Z_EN: 0
; COMPUTE_PGM_RSRC2:TIDIG_COMP_CNT: 0
	.section	.text._Z12cross_kernelIdiEviPT_PKS0_S3_T0_S4_S4_,"axG",@progbits,_Z12cross_kernelIdiEviPT_PKS0_S3_T0_S4_S4_,comdat
	.protected	_Z12cross_kernelIdiEviPT_PKS0_S3_T0_S4_S4_ ; -- Begin function _Z12cross_kernelIdiEviPT_PKS0_S3_T0_S4_S4_
	.globl	_Z12cross_kernelIdiEviPT_PKS0_S3_T0_S4_S4_
	.p2align	8
	.type	_Z12cross_kernelIdiEviPT_PKS0_S3_T0_S4_S4_,@function
_Z12cross_kernelIdiEviPT_PKS0_S3_T0_S4_S4_: ; @_Z12cross_kernelIdiEviPT_PKS0_S3_T0_S4_S4_
; %bb.0:
	s_clause 0x1
	s_load_b32 s2, s[0:1], 0x3c
	s_load_b32 s18, s[0:1], 0x0
	s_bfe_u32 s3, ttmp6, 0x4000c
	s_and_b32 s4, ttmp6, 15
	s_add_co_i32 s3, s3, 1
	s_getreg_b32 s5, hwreg(HW_REG_IB_STS2, 6, 4)
	s_mul_i32 s3, ttmp9, s3
	s_mov_b32 s19, 0
	s_add_co_i32 s4, s4, s3
	s_wait_kmcnt 0x0
	s_and_b32 s11, s2, 0xffff
	s_cmp_eq_u32 s5, 0
	s_cselect_b32 s2, ttmp9, s4
	s_delay_alu instid0(SALU_CYCLE_1) | instskip(SKIP_1) | instid1(VALU_DEP_1)
	v_mad_u32 v2, s2, s11, v0
	s_mov_b32 s2, exec_lo
	v_cmpx_gt_i32_e64 s18, v2
	s_cbranch_execz .LBB3_3
; %bb.1:
	s_load_b96 s[8:10], s[0:1], 0x20
	s_add_nc_u64 s[12:13], s[0:1], 48
	s_load_b32 s20, s[12:13], 0x0
	s_clause 0x1
	s_load_b128 s[4:7], s[0:1], 0x8
	s_load_b64 s[2:3], s[0:1], 0x18
	v_lshl_add_u32 v0, v2, 1, v2
	s_wait_kmcnt 0x0
	s_ashr_i32 s15, s10, 31
	s_mov_b32 s14, s10
	s_ashr_i32 s1, s9, 31
	s_mov_b32 s0, s9
	s_lshl_b32 s12, s10, 1
	s_ashr_i32 s9, s8, 31
	s_mul_i32 s20, s20, s11
	s_lshl_b64 s[16:17], s[14:15], 3
	s_ashr_i32 s13, s12, 31
	s_lshl_b64 s[10:11], s[0:1], 3
	s_lshl_b64 s[14:15], s[8:9], 3
	s_sub_nc_u64 s[16:17], 0, s[16:17]
	s_mul_i32 s21, s20, 3
.LBB3_2:                                ; =>This Inner Loop Header: Depth=1
	v_dual_ashrrev_i32 v1, 31, v0 :: v_dual_add_nc_u32 v2, s20, v2
	s_delay_alu instid0(VALU_DEP_1) | instskip(NEXT) | instid1(VALU_DEP_2)
	v_lshlrev_b64_e32 v[4:5], 3, v[0:1]
	v_cmp_le_i32_e32 vcc_lo, s18, v2
	s_or_b32 s19, vcc_lo, s19
	s_delay_alu instid0(VALU_DEP_2) | instskip(SKIP_2) | instid1(VALU_DEP_3)
	v_add_nc_u64_e32 v[6:7], s[6:7], v[4:5]
	v_add_nc_u64_e32 v[8:9], s[2:3], v[4:5]
	;; [unrolled: 1-line block ×3, first 2 shown]
	v_lshl_add_u64 v[6:7], s[0:1], 3, v[6:7]
	s_delay_alu instid0(VALU_DEP_3) | instskip(NEXT) | instid1(VALU_DEP_3)
	v_lshl_add_u64 v[8:9], s[12:13], 3, v[8:9]
	v_lshl_add_u64 v[4:5], s[8:9], 3, v[4:5]
	s_delay_alu instid0(VALU_DEP_3) | instskip(NEXT) | instid1(VALU_DEP_3)
	v_add_nc_u64_e32 v[10:11], s[10:11], v[6:7]
	v_add_nc_u64_e32 v[12:13], s[16:17], v[8:9]
	global_load_b64 v[14:15], v[10:11], off
	s_clause 0x2
	global_load_b64 v[16:17], v[12:13], off
	global_load_b64 v[18:19], v0, s[2:3] scale_offset
	global_load_b64 v[20:21], v0, s[6:7] scale_offset
	global_load_b64 v[22:23], v[8:9], off
	global_load_b64 v[24:25], v[6:7], off
	s_wait_xcnt 0x4
	v_add_nc_u64_e32 v[12:13], s[14:15], v[4:5]
	s_wait_loadcnt 0x4
	s_wait_xcnt 0x0
	v_mul_f64_e32 v[6:7], v[14:15], v[16:17]
	s_wait_loadcnt 0x1
	v_mul_f64_e32 v[8:9], v[22:23], v[20:21]
	s_wait_loadcnt 0x0
	v_mul_f64_e32 v[10:11], v[24:25], v[18:19]
	s_delay_alu instid0(VALU_DEP_3) | instskip(NEXT) | instid1(VALU_DEP_3)
	v_fma_f64 v[6:7], v[24:25], v[22:23], -v[6:7]
	v_fma_f64 v[8:9], v[14:15], v[18:19], -v[8:9]
	s_delay_alu instid0(VALU_DEP_3)
	v_fma_f64 v[10:11], v[16:17], v[20:21], -v[10:11]
	global_store_b64 v0, v[6:7], s[4:5] scale_offset
	s_wait_xcnt 0x0
	v_add_nc_u32_e32 v0, s21, v0
	s_clause 0x1
	global_store_b64 v[4:5], v[8:9], off
	global_store_b64 v[12:13], v[10:11], off
	s_wait_xcnt 0x0
	s_and_not1_b32 exec_lo, exec_lo, s19
	s_cbranch_execnz .LBB3_2
.LBB3_3:
	s_endpgm
	.section	.rodata,"a",@progbits
	.p2align	6, 0x0
	.amdhsa_kernel _Z12cross_kernelIdiEviPT_PKS0_S3_T0_S4_S4_
		.amdhsa_group_segment_fixed_size 0
		.amdhsa_private_segment_fixed_size 0
		.amdhsa_kernarg_size 304
		.amdhsa_user_sgpr_count 2
		.amdhsa_user_sgpr_dispatch_ptr 0
		.amdhsa_user_sgpr_queue_ptr 0
		.amdhsa_user_sgpr_kernarg_segment_ptr 1
		.amdhsa_user_sgpr_dispatch_id 0
		.amdhsa_user_sgpr_kernarg_preload_length 0
		.amdhsa_user_sgpr_kernarg_preload_offset 0
		.amdhsa_user_sgpr_private_segment_size 0
		.amdhsa_wavefront_size32 1
		.amdhsa_uses_dynamic_stack 0
		.amdhsa_enable_private_segment 0
		.amdhsa_system_sgpr_workgroup_id_x 1
		.amdhsa_system_sgpr_workgroup_id_y 0
		.amdhsa_system_sgpr_workgroup_id_z 0
		.amdhsa_system_sgpr_workgroup_info 0
		.amdhsa_system_vgpr_workitem_id 0
		.amdhsa_next_free_vgpr 26
		.amdhsa_next_free_sgpr 22
		.amdhsa_named_barrier_count 0
		.amdhsa_reserve_vcc 1
		.amdhsa_float_round_mode_32 0
		.amdhsa_float_round_mode_16_64 0
		.amdhsa_float_denorm_mode_32 3
		.amdhsa_float_denorm_mode_16_64 3
		.amdhsa_fp16_overflow 0
		.amdhsa_memory_ordered 1
		.amdhsa_forward_progress 1
		.amdhsa_inst_pref_size 4
		.amdhsa_round_robin_scheduling 0
		.amdhsa_exception_fp_ieee_invalid_op 0
		.amdhsa_exception_fp_denorm_src 0
		.amdhsa_exception_fp_ieee_div_zero 0
		.amdhsa_exception_fp_ieee_overflow 0
		.amdhsa_exception_fp_ieee_underflow 0
		.amdhsa_exception_fp_ieee_inexact 0
		.amdhsa_exception_int_div_zero 0
	.end_amdhsa_kernel
	.section	.text._Z12cross_kernelIdiEviPT_PKS0_S3_T0_S4_S4_,"axG",@progbits,_Z12cross_kernelIdiEviPT_PKS0_S3_T0_S4_S4_,comdat
.Lfunc_end3:
	.size	_Z12cross_kernelIdiEviPT_PKS0_S3_T0_S4_S4_, .Lfunc_end3-_Z12cross_kernelIdiEviPT_PKS0_S3_T0_S4_S4_
                                        ; -- End function
	.set _Z12cross_kernelIdiEviPT_PKS0_S3_T0_S4_S4_.num_vgpr, 26
	.set _Z12cross_kernelIdiEviPT_PKS0_S3_T0_S4_S4_.num_agpr, 0
	.set _Z12cross_kernelIdiEviPT_PKS0_S3_T0_S4_S4_.numbered_sgpr, 22
	.set _Z12cross_kernelIdiEviPT_PKS0_S3_T0_S4_S4_.num_named_barrier, 0
	.set _Z12cross_kernelIdiEviPT_PKS0_S3_T0_S4_S4_.private_seg_size, 0
	.set _Z12cross_kernelIdiEviPT_PKS0_S3_T0_S4_S4_.uses_vcc, 1
	.set _Z12cross_kernelIdiEviPT_PKS0_S3_T0_S4_S4_.uses_flat_scratch, 0
	.set _Z12cross_kernelIdiEviPT_PKS0_S3_T0_S4_S4_.has_dyn_sized_stack, 0
	.set _Z12cross_kernelIdiEviPT_PKS0_S3_T0_S4_S4_.has_recursion, 0
	.set _Z12cross_kernelIdiEviPT_PKS0_S3_T0_S4_S4_.has_indirect_call, 0
	.section	.AMDGPU.csdata,"",@progbits
; Kernel info:
; codeLenInByte = 496
; TotalNumSgprs: 24
; NumVgprs: 26
; ScratchSize: 0
; MemoryBound: 0
; FloatMode: 240
; IeeeMode: 1
; LDSByteSize: 0 bytes/workgroup (compile time only)
; SGPRBlocks: 0
; VGPRBlocks: 1
; NumSGPRsForWavesPerEU: 24
; NumVGPRsForWavesPerEU: 26
; NamedBarCnt: 0
; Occupancy: 16
; WaveLimiterHint : 0
; COMPUTE_PGM_RSRC2:SCRATCH_EN: 0
; COMPUTE_PGM_RSRC2:USER_SGPR: 2
; COMPUTE_PGM_RSRC2:TRAP_HANDLER: 0
; COMPUTE_PGM_RSRC2:TGID_X_EN: 1
; COMPUTE_PGM_RSRC2:TGID_Y_EN: 0
; COMPUTE_PGM_RSRC2:TGID_Z_EN: 0
; COMPUTE_PGM_RSRC2:TIDIG_COMP_CNT: 0
	.section	.text._Z13cross2_kernelIdiEviPT_PKS0_S3_T0_S4_S4_,"axG",@progbits,_Z13cross2_kernelIdiEviPT_PKS0_S3_T0_S4_S4_,comdat
	.protected	_Z13cross2_kernelIdiEviPT_PKS0_S3_T0_S4_S4_ ; -- Begin function _Z13cross2_kernelIdiEviPT_PKS0_S3_T0_S4_S4_
	.globl	_Z13cross2_kernelIdiEviPT_PKS0_S3_T0_S4_S4_
	.p2align	8
	.type	_Z13cross2_kernelIdiEviPT_PKS0_S3_T0_S4_S4_,@function
_Z13cross2_kernelIdiEviPT_PKS0_S3_T0_S4_S4_: ; @_Z13cross2_kernelIdiEviPT_PKS0_S3_T0_S4_S4_
; %bb.0:
	s_clause 0x1
	s_load_b32 s2, s[0:1], 0x3c
	s_load_b32 s18, s[0:1], 0x0
	s_bfe_u32 s3, ttmp6, 0x4000c
	s_and_b32 s4, ttmp6, 15
	s_add_co_i32 s3, s3, 1
	s_getreg_b32 s5, hwreg(HW_REG_IB_STS2, 6, 4)
	s_mul_i32 s3, ttmp9, s3
	s_mov_b32 s19, 0
	s_add_co_i32 s4, s4, s3
	s_wait_kmcnt 0x0
	s_and_b32 s12, s2, 0xffff
	s_cmp_eq_u32 s5, 0
	s_cselect_b32 s2, ttmp9, s4
	s_delay_alu instid0(SALU_CYCLE_1) | instskip(SKIP_1) | instid1(VALU_DEP_1)
	v_mad_u32 v2, s2, s12, v0
	s_mov_b32 s2, exec_lo
	v_cmpx_gt_i32_e64 s18, v2
	s_cbranch_execz .LBB4_3
; %bb.1:
	s_load_b96 s[8:10], s[0:1], 0x20
	s_add_nc_u64 s[14:15], s[0:1], 48
	s_load_b32 s20, s[14:15], 0x0
	s_clause 0x1
	s_load_b128 s[4:7], s[0:1], 0x8
	s_load_b64 s[2:3], s[0:1], 0x18
	v_lshl_add_u32 v0, v2, 1, v2
	s_wait_kmcnt 0x0
	s_ashr_i32 s1, s9, 31
	s_mov_b32 s0, s9
	s_ashr_i32 s11, s10, 31
	s_ashr_i32 s9, s8, 31
	s_mul_i32 s20, s20, s12
	s_lshl_b64 s[12:13], s[0:1], 3
	s_lshl_b64 s[14:15], s[10:11], 3
	;; [unrolled: 1-line block ×3, first 2 shown]
	s_mul_i32 s21, s20, 3
.LBB4_2:                                ; =>This Inner Loop Header: Depth=1
	v_dual_ashrrev_i32 v1, 31, v0 :: v_dual_add_nc_u32 v2, s20, v2
	s_delay_alu instid0(VALU_DEP_1) | instskip(NEXT) | instid1(VALU_DEP_2)
	v_lshlrev_b64_e32 v[4:5], 3, v[0:1]
	v_cmp_le_i32_e32 vcc_lo, s18, v2
	s_or_b32 s19, vcc_lo, s19
	s_delay_alu instid0(VALU_DEP_2) | instskip(SKIP_2) | instid1(VALU_DEP_3)
	v_add_nc_u64_e32 v[6:7], s[6:7], v[4:5]
	v_add_nc_u64_e32 v[8:9], s[2:3], v[4:5]
	;; [unrolled: 1-line block ×3, first 2 shown]
	v_lshl_add_u64 v[6:7], s[0:1], 3, v[6:7]
	s_delay_alu instid0(VALU_DEP_3) | instskip(NEXT) | instid1(VALU_DEP_3)
	v_lshl_add_u64 v[8:9], s[10:11], 3, v[8:9]
	v_lshl_add_u64 v[4:5], s[8:9], 3, v[4:5]
	s_delay_alu instid0(VALU_DEP_3) | instskip(NEXT) | instid1(VALU_DEP_3)
	v_add_nc_u64_e32 v[10:11], s[12:13], v[6:7]
	v_add_nc_u64_e32 v[12:13], s[14:15], v[8:9]
	global_load_b64 v[14:15], v[8:9], off
	s_clause 0x1
	global_load_b64 v[16:17], v[10:11], off
	global_load_b64 v[18:19], v[6:7], off
	;; [unrolled: 1-line block ×3, first 2 shown]
	s_clause 0x1
	global_load_b64 v[22:23], v0, s[6:7] scale_offset
	global_load_b64 v[24:25], v0, s[2:3] scale_offset
	s_wait_xcnt 0x2
	v_add_nc_u64_e32 v[12:13], s[16:17], v[4:5]
	s_wait_loadcnt 0x4
	v_mul_f64_e32 v[6:7], v[16:17], v[14:15]
	s_wait_loadcnt 0x1
	v_mul_f64_e32 v[8:9], v[22:23], v[20:21]
	s_wait_loadcnt 0x0
	v_mul_f64_e32 v[10:11], v[18:19], v[24:25]
	s_delay_alu instid0(VALU_DEP_3) | instskip(NEXT) | instid1(VALU_DEP_3)
	v_fma_f64 v[6:7], v[18:19], v[20:21], -v[6:7]
	v_fma_f64 v[8:9], v[16:17], v[24:25], -v[8:9]
	s_delay_alu instid0(VALU_DEP_3)
	v_fma_f64 v[10:11], v[22:23], v[14:15], -v[10:11]
	global_store_b64 v0, v[6:7], s[4:5] scale_offset
	s_wait_xcnt 0x0
	v_add_nc_u32_e32 v0, s21, v0
	s_clause 0x1
	global_store_b64 v[4:5], v[8:9], off
	global_store_b64 v[12:13], v[10:11], off
	s_wait_xcnt 0x0
	s_and_not1_b32 exec_lo, exec_lo, s19
	s_cbranch_execnz .LBB4_2
.LBB4_3:
	s_endpgm
	.section	.rodata,"a",@progbits
	.p2align	6, 0x0
	.amdhsa_kernel _Z13cross2_kernelIdiEviPT_PKS0_S3_T0_S4_S4_
		.amdhsa_group_segment_fixed_size 0
		.amdhsa_private_segment_fixed_size 0
		.amdhsa_kernarg_size 304
		.amdhsa_user_sgpr_count 2
		.amdhsa_user_sgpr_dispatch_ptr 0
		.amdhsa_user_sgpr_queue_ptr 0
		.amdhsa_user_sgpr_kernarg_segment_ptr 1
		.amdhsa_user_sgpr_dispatch_id 0
		.amdhsa_user_sgpr_kernarg_preload_length 0
		.amdhsa_user_sgpr_kernarg_preload_offset 0
		.amdhsa_user_sgpr_private_segment_size 0
		.amdhsa_wavefront_size32 1
		.amdhsa_uses_dynamic_stack 0
		.amdhsa_enable_private_segment 0
		.amdhsa_system_sgpr_workgroup_id_x 1
		.amdhsa_system_sgpr_workgroup_id_y 0
		.amdhsa_system_sgpr_workgroup_id_z 0
		.amdhsa_system_sgpr_workgroup_info 0
		.amdhsa_system_vgpr_workitem_id 0
		.amdhsa_next_free_vgpr 26
		.amdhsa_next_free_sgpr 22
		.amdhsa_named_barrier_count 0
		.amdhsa_reserve_vcc 1
		.amdhsa_float_round_mode_32 0
		.amdhsa_float_round_mode_16_64 0
		.amdhsa_float_denorm_mode_32 3
		.amdhsa_float_denorm_mode_16_64 3
		.amdhsa_fp16_overflow 0
		.amdhsa_memory_ordered 1
		.amdhsa_forward_progress 1
		.amdhsa_inst_pref_size 4
		.amdhsa_round_robin_scheduling 0
		.amdhsa_exception_fp_ieee_invalid_op 0
		.amdhsa_exception_fp_denorm_src 0
		.amdhsa_exception_fp_ieee_div_zero 0
		.amdhsa_exception_fp_ieee_overflow 0
		.amdhsa_exception_fp_ieee_underflow 0
		.amdhsa_exception_fp_ieee_inexact 0
		.amdhsa_exception_int_div_zero 0
	.end_amdhsa_kernel
	.section	.text._Z13cross2_kernelIdiEviPT_PKS0_S3_T0_S4_S4_,"axG",@progbits,_Z13cross2_kernelIdiEviPT_PKS0_S3_T0_S4_S4_,comdat
.Lfunc_end4:
	.size	_Z13cross2_kernelIdiEviPT_PKS0_S3_T0_S4_S4_, .Lfunc_end4-_Z13cross2_kernelIdiEviPT_PKS0_S3_T0_S4_S4_
                                        ; -- End function
	.set _Z13cross2_kernelIdiEviPT_PKS0_S3_T0_S4_S4_.num_vgpr, 26
	.set _Z13cross2_kernelIdiEviPT_PKS0_S3_T0_S4_S4_.num_agpr, 0
	.set _Z13cross2_kernelIdiEviPT_PKS0_S3_T0_S4_S4_.numbered_sgpr, 22
	.set _Z13cross2_kernelIdiEviPT_PKS0_S3_T0_S4_S4_.num_named_barrier, 0
	.set _Z13cross2_kernelIdiEviPT_PKS0_S3_T0_S4_S4_.private_seg_size, 0
	.set _Z13cross2_kernelIdiEviPT_PKS0_S3_T0_S4_S4_.uses_vcc, 1
	.set _Z13cross2_kernelIdiEviPT_PKS0_S3_T0_S4_S4_.uses_flat_scratch, 0
	.set _Z13cross2_kernelIdiEviPT_PKS0_S3_T0_S4_S4_.has_dyn_sized_stack, 0
	.set _Z13cross2_kernelIdiEviPT_PKS0_S3_T0_S4_S4_.has_recursion, 0
	.set _Z13cross2_kernelIdiEviPT_PKS0_S3_T0_S4_S4_.has_indirect_call, 0
	.section	.AMDGPU.csdata,"",@progbits
; Kernel info:
; codeLenInByte = 480
; TotalNumSgprs: 24
; NumVgprs: 26
; ScratchSize: 0
; MemoryBound: 0
; FloatMode: 240
; IeeeMode: 1
; LDSByteSize: 0 bytes/workgroup (compile time only)
; SGPRBlocks: 0
; VGPRBlocks: 1
; NumSGPRsForWavesPerEU: 24
; NumVGPRsForWavesPerEU: 26
; NamedBarCnt: 0
; Occupancy: 16
; WaveLimiterHint : 0
; COMPUTE_PGM_RSRC2:SCRATCH_EN: 0
; COMPUTE_PGM_RSRC2:USER_SGPR: 2
; COMPUTE_PGM_RSRC2:TRAP_HANDLER: 0
; COMPUTE_PGM_RSRC2:TGID_X_EN: 1
; COMPUTE_PGM_RSRC2:TGID_Y_EN: 0
; COMPUTE_PGM_RSRC2:TGID_Z_EN: 0
; COMPUTE_PGM_RSRC2:TIDIG_COMP_CNT: 0
	.section	.text._Z13cross3_kernelIdEviPT_PKS0_S3_,"axG",@progbits,_Z13cross3_kernelIdEviPT_PKS0_S3_,comdat
	.protected	_Z13cross3_kernelIdEviPT_PKS0_S3_ ; -- Begin function _Z13cross3_kernelIdEviPT_PKS0_S3_
	.globl	_Z13cross3_kernelIdEviPT_PKS0_S3_
	.p2align	8
	.type	_Z13cross3_kernelIdEviPT_PKS0_S3_,@function
_Z13cross3_kernelIdEviPT_PKS0_S3_:      ; @_Z13cross3_kernelIdEviPT_PKS0_S3_
; %bb.0:
	s_clause 0x1
	s_load_b32 s2, s[0:1], 0x2c
	s_load_b32 s8, s[0:1], 0x0
	s_bfe_u32 s3, ttmp6, 0x4000c
	s_and_b32 s4, ttmp6, 15
	s_add_co_i32 s3, s3, 1
	s_getreg_b32 s5, hwreg(HW_REG_IB_STS2, 6, 4)
	s_mul_i32 s3, ttmp9, s3
	s_mov_b32 s9, 0
	s_add_co_i32 s4, s4, s3
	s_wait_kmcnt 0x0
	s_and_b32 s10, s2, 0xffff
	s_cmp_eq_u32 s5, 0
	s_cselect_b32 s2, ttmp9, s4
	s_delay_alu instid0(SALU_CYCLE_1) | instskip(SKIP_1) | instid1(VALU_DEP_1)
	v_mad_u32 v2, s2, s10, v0
	s_mov_b32 s2, exec_lo
	v_cmpx_gt_i32_e64 s8, v2
	s_cbranch_execz .LBB5_3
; %bb.1:
	s_add_nc_u64 s[12:13], s[0:1], 32
	v_lshl_add_u32 v0, v2, 1, v2
	s_load_b32 s11, s[12:13], 0x0
	s_clause 0x1
	s_load_b128 s[4:7], s[0:1], 0x8
	s_load_b64 s[2:3], s[0:1], 0x18
	s_wait_kmcnt 0x0
	s_mul_i32 s0, s11, s10
	s_delay_alu instid0(SALU_CYCLE_1)
	s_mul_i32 s1, s0, 3
.LBB5_2:                                ; =>This Inner Loop Header: Depth=1
	v_dual_ashrrev_i32 v1, 31, v0 :: v_dual_add_nc_u32 v2, s0, v2
	s_delay_alu instid0(VALU_DEP_1) | instskip(NEXT) | instid1(VALU_DEP_2)
	v_lshlrev_b64_e32 v[12:13], 3, v[0:1]
	v_cmp_le_i32_e32 vcc_lo, s8, v2
	s_or_b32 s9, vcc_lo, s9
	s_delay_alu instid0(VALU_DEP_2)
	v_add_nc_u64_e32 v[14:15], s[6:7], v[12:13]
	v_add_nc_u64_e32 v[16:17], s[2:3], v[12:13]
	global_load_b128 v[4:7], v[14:15], off
	global_load_b128 v[8:11], v[16:17], off
	s_clause 0x1
	global_load_b64 v[18:19], v0, s[6:7] offset:16 scale_offset
	global_load_b64 v[20:21], v0, s[2:3] offset:16 scale_offset
	s_wait_loadcnt 0x2
	s_wait_xcnt 0x3
	v_mul_f64_e32 v[14:15], v[6:7], v[8:9]
	s_wait_loadcnt 0x1
	s_wait_xcnt 0x2
	v_mul_f64_e32 v[16:17], v[18:19], v[10:11]
	s_wait_loadcnt 0x0
	v_mul_f64_e32 v[22:23], v[4:5], v[20:21]
	s_delay_alu instid0(VALU_DEP_3) | instskip(NEXT) | instid1(VALU_DEP_3)
	v_fma_f64 v[10:11], v[4:5], v[10:11], -v[14:15]
	v_fma_f64 v[4:5], v[6:7], v[20:21], -v[16:17]
	s_delay_alu instid0(VALU_DEP_3)
	v_fma_f64 v[6:7], v[18:19], v[8:9], -v[22:23]
	v_add_nc_u64_e32 v[8:9], s[4:5], v[12:13]
	global_store_b64 v0, v[10:11], s[4:5] offset:16 scale_offset
	s_wait_xcnt 0x0
	v_add_nc_u32_e32 v0, s1, v0
	global_store_b128 v[8:9], v[4:7], off
	s_wait_xcnt 0x0
	s_and_not1_b32 exec_lo, exec_lo, s9
	s_cbranch_execnz .LBB5_2
.LBB5_3:
	s_endpgm
	.section	.rodata,"a",@progbits
	.p2align	6, 0x0
	.amdhsa_kernel _Z13cross3_kernelIdEviPT_PKS0_S3_
		.amdhsa_group_segment_fixed_size 0
		.amdhsa_private_segment_fixed_size 0
		.amdhsa_kernarg_size 288
		.amdhsa_user_sgpr_count 2
		.amdhsa_user_sgpr_dispatch_ptr 0
		.amdhsa_user_sgpr_queue_ptr 0
		.amdhsa_user_sgpr_kernarg_segment_ptr 1
		.amdhsa_user_sgpr_dispatch_id 0
		.amdhsa_user_sgpr_kernarg_preload_length 0
		.amdhsa_user_sgpr_kernarg_preload_offset 0
		.amdhsa_user_sgpr_private_segment_size 0
		.amdhsa_wavefront_size32 1
		.amdhsa_uses_dynamic_stack 0
		.amdhsa_enable_private_segment 0
		.amdhsa_system_sgpr_workgroup_id_x 1
		.amdhsa_system_sgpr_workgroup_id_y 0
		.amdhsa_system_sgpr_workgroup_id_z 0
		.amdhsa_system_sgpr_workgroup_info 0
		.amdhsa_system_vgpr_workitem_id 0
		.amdhsa_next_free_vgpr 24
		.amdhsa_next_free_sgpr 14
		.amdhsa_named_barrier_count 0
		.amdhsa_reserve_vcc 1
		.amdhsa_float_round_mode_32 0
		.amdhsa_float_round_mode_16_64 0
		.amdhsa_float_denorm_mode_32 3
		.amdhsa_float_denorm_mode_16_64 3
		.amdhsa_fp16_overflow 0
		.amdhsa_memory_ordered 1
		.amdhsa_forward_progress 1
		.amdhsa_inst_pref_size 3
		.amdhsa_round_robin_scheduling 0
		.amdhsa_exception_fp_ieee_invalid_op 0
		.amdhsa_exception_fp_denorm_src 0
		.amdhsa_exception_fp_ieee_div_zero 0
		.amdhsa_exception_fp_ieee_overflow 0
		.amdhsa_exception_fp_ieee_underflow 0
		.amdhsa_exception_fp_ieee_inexact 0
		.amdhsa_exception_int_div_zero 0
	.end_amdhsa_kernel
	.section	.text._Z13cross3_kernelIdEviPT_PKS0_S3_,"axG",@progbits,_Z13cross3_kernelIdEviPT_PKS0_S3_,comdat
.Lfunc_end5:
	.size	_Z13cross3_kernelIdEviPT_PKS0_S3_, .Lfunc_end5-_Z13cross3_kernelIdEviPT_PKS0_S3_
                                        ; -- End function
	.set _Z13cross3_kernelIdEviPT_PKS0_S3_.num_vgpr, 24
	.set _Z13cross3_kernelIdEviPT_PKS0_S3_.num_agpr, 0
	.set _Z13cross3_kernelIdEviPT_PKS0_S3_.numbered_sgpr, 14
	.set _Z13cross3_kernelIdEviPT_PKS0_S3_.num_named_barrier, 0
	.set _Z13cross3_kernelIdEviPT_PKS0_S3_.private_seg_size, 0
	.set _Z13cross3_kernelIdEviPT_PKS0_S3_.uses_vcc, 1
	.set _Z13cross3_kernelIdEviPT_PKS0_S3_.uses_flat_scratch, 0
	.set _Z13cross3_kernelIdEviPT_PKS0_S3_.has_dyn_sized_stack, 0
	.set _Z13cross3_kernelIdEviPT_PKS0_S3_.has_recursion, 0
	.set _Z13cross3_kernelIdEviPT_PKS0_S3_.has_indirect_call, 0
	.section	.AMDGPU.csdata,"",@progbits
; Kernel info:
; codeLenInByte = 364
; TotalNumSgprs: 16
; NumVgprs: 24
; ScratchSize: 0
; MemoryBound: 0
; FloatMode: 240
; IeeeMode: 1
; LDSByteSize: 0 bytes/workgroup (compile time only)
; SGPRBlocks: 0
; VGPRBlocks: 1
; NumSGPRsForWavesPerEU: 16
; NumVGPRsForWavesPerEU: 24
; NamedBarCnt: 0
; Occupancy: 16
; WaveLimiterHint : 0
; COMPUTE_PGM_RSRC2:SCRATCH_EN: 0
; COMPUTE_PGM_RSRC2:USER_SGPR: 2
; COMPUTE_PGM_RSRC2:TRAP_HANDLER: 0
; COMPUTE_PGM_RSRC2:TGID_X_EN: 1
; COMPUTE_PGM_RSRC2:TGID_Y_EN: 0
; COMPUTE_PGM_RSRC2:TGID_Z_EN: 0
; COMPUTE_PGM_RSRC2:TIDIG_COMP_CNT: 0
	.section	.AMDGPU.gpr_maximums,"",@progbits
	.set amdgpu.max_num_vgpr, 0
	.set amdgpu.max_num_agpr, 0
	.set amdgpu.max_num_sgpr, 0
	.section	.AMDGPU.csdata,"",@progbits
	.type	__hip_cuid_6e487d1061d1cf6b,@object ; @__hip_cuid_6e487d1061d1cf6b
	.section	.bss,"aw",@nobits
	.globl	__hip_cuid_6e487d1061d1cf6b
__hip_cuid_6e487d1061d1cf6b:
	.byte	0                               ; 0x0
	.size	__hip_cuid_6e487d1061d1cf6b, 1

	.ident	"AMD clang version 22.0.0git (https://github.com/RadeonOpenCompute/llvm-project roc-7.2.4 26084 f58b06dce1f9c15707c5f808fd002e18c2accf7e)"
	.section	".note.GNU-stack","",@progbits
	.addrsig
	.addrsig_sym __hip_cuid_6e487d1061d1cf6b
	.amdgpu_metadata
---
amdhsa.kernels:
  - .args:
      - .offset:         0
        .size:           4
        .value_kind:     by_value
      - .address_space:  global
        .offset:         8
        .size:           8
        .value_kind:     global_buffer
      - .address_space:  global
        .offset:         16
        .size:           8
        .value_kind:     global_buffer
      - .address_space:  global
        .offset:         24
        .size:           8
        .value_kind:     global_buffer
      - .offset:         32
        .size:           4
        .value_kind:     by_value
      - .offset:         36
        .size:           4
        .value_kind:     by_value
      - .offset:         40
        .size:           4
        .value_kind:     by_value
      - .offset:         48
        .size:           4
        .value_kind:     hidden_block_count_x
      - .offset:         52
        .size:           4
        .value_kind:     hidden_block_count_y
      - .offset:         56
        .size:           4
        .value_kind:     hidden_block_count_z
      - .offset:         60
        .size:           2
        .value_kind:     hidden_group_size_x
      - .offset:         62
        .size:           2
        .value_kind:     hidden_group_size_y
      - .offset:         64
        .size:           2
        .value_kind:     hidden_group_size_z
      - .offset:         66
        .size:           2
        .value_kind:     hidden_remainder_x
      - .offset:         68
        .size:           2
        .value_kind:     hidden_remainder_y
      - .offset:         70
        .size:           2
        .value_kind:     hidden_remainder_z
      - .offset:         88
        .size:           8
        .value_kind:     hidden_global_offset_x
      - .offset:         96
        .size:           8
        .value_kind:     hidden_global_offset_y
      - .offset:         104
        .size:           8
        .value_kind:     hidden_global_offset_z
      - .offset:         112
        .size:           2
        .value_kind:     hidden_grid_dims
    .group_segment_fixed_size: 0
    .kernarg_segment_align: 8
    .kernarg_segment_size: 304
    .language:       OpenCL C
    .language_version:
      - 2
      - 0
    .max_flat_workgroup_size: 1024
    .name:           _Z12cross_kernelIfiEviPT_PKS0_S3_T0_S4_S4_
    .private_segment_fixed_size: 0
    .sgpr_count:     24
    .sgpr_spill_count: 0
    .symbol:         _Z12cross_kernelIfiEviPT_PKS0_S3_T0_S4_S4_.kd
    .uniform_work_group_size: 1
    .uses_dynamic_stack: false
    .vgpr_count:     18
    .vgpr_spill_count: 0
    .wavefront_size: 32
  - .args:
      - .offset:         0
        .size:           4
        .value_kind:     by_value
      - .address_space:  global
        .offset:         8
        .size:           8
        .value_kind:     global_buffer
      - .address_space:  global
        .offset:         16
        .size:           8
        .value_kind:     global_buffer
      - .address_space:  global
        .offset:         24
        .size:           8
        .value_kind:     global_buffer
      - .offset:         32
        .size:           4
        .value_kind:     by_value
      - .offset:         36
        .size:           4
        .value_kind:     by_value
      - .offset:         40
        .size:           4
        .value_kind:     by_value
      - .offset:         48
        .size:           4
        .value_kind:     hidden_block_count_x
      - .offset:         52
        .size:           4
        .value_kind:     hidden_block_count_y
      - .offset:         56
        .size:           4
        .value_kind:     hidden_block_count_z
      - .offset:         60
        .size:           2
        .value_kind:     hidden_group_size_x
      - .offset:         62
        .size:           2
        .value_kind:     hidden_group_size_y
      - .offset:         64
        .size:           2
        .value_kind:     hidden_group_size_z
      - .offset:         66
        .size:           2
        .value_kind:     hidden_remainder_x
      - .offset:         68
        .size:           2
        .value_kind:     hidden_remainder_y
      - .offset:         70
        .size:           2
        .value_kind:     hidden_remainder_z
      - .offset:         88
        .size:           8
        .value_kind:     hidden_global_offset_x
      - .offset:         96
        .size:           8
        .value_kind:     hidden_global_offset_y
      - .offset:         104
        .size:           8
        .value_kind:     hidden_global_offset_z
      - .offset:         112
        .size:           2
        .value_kind:     hidden_grid_dims
    .group_segment_fixed_size: 0
    .kernarg_segment_align: 8
    .kernarg_segment_size: 304
    .language:       OpenCL C
    .language_version:
      - 2
      - 0
    .max_flat_workgroup_size: 1024
    .name:           _Z13cross2_kernelIfiEviPT_PKS0_S3_T0_S4_S4_
    .private_segment_fixed_size: 0
    .sgpr_count:     24
    .sgpr_spill_count: 0
    .symbol:         _Z13cross2_kernelIfiEviPT_PKS0_S3_T0_S4_S4_.kd
    .uniform_work_group_size: 1
    .uses_dynamic_stack: false
    .vgpr_count:     18
    .vgpr_spill_count: 0
    .wavefront_size: 32
  - .args:
      - .offset:         0
        .size:           4
        .value_kind:     by_value
      - .address_space:  global
        .offset:         8
        .size:           8
        .value_kind:     global_buffer
      - .address_space:  global
        .offset:         16
        .size:           8
        .value_kind:     global_buffer
      - .address_space:  global
        .offset:         24
        .size:           8
        .value_kind:     global_buffer
      - .offset:         32
        .size:           4
        .value_kind:     hidden_block_count_x
      - .offset:         36
        .size:           4
        .value_kind:     hidden_block_count_y
      - .offset:         40
        .size:           4
        .value_kind:     hidden_block_count_z
      - .offset:         44
        .size:           2
        .value_kind:     hidden_group_size_x
      - .offset:         46
        .size:           2
        .value_kind:     hidden_group_size_y
      - .offset:         48
        .size:           2
        .value_kind:     hidden_group_size_z
      - .offset:         50
        .size:           2
        .value_kind:     hidden_remainder_x
      - .offset:         52
        .size:           2
        .value_kind:     hidden_remainder_y
      - .offset:         54
        .size:           2
        .value_kind:     hidden_remainder_z
      - .offset:         72
        .size:           8
        .value_kind:     hidden_global_offset_x
      - .offset:         80
        .size:           8
        .value_kind:     hidden_global_offset_y
      - .offset:         88
        .size:           8
        .value_kind:     hidden_global_offset_z
      - .offset:         96
        .size:           2
        .value_kind:     hidden_grid_dims
    .group_segment_fixed_size: 0
    .kernarg_segment_align: 8
    .kernarg_segment_size: 288
    .language:       OpenCL C
    .language_version:
      - 2
      - 0
    .max_flat_workgroup_size: 1024
    .name:           _Z13cross3_kernelIfEviPT_PKS0_S3_
    .private_segment_fixed_size: 0
    .sgpr_count:     16
    .sgpr_spill_count: 0
    .symbol:         _Z13cross3_kernelIfEviPT_PKS0_S3_.kd
    .uniform_work_group_size: 1
    .uses_dynamic_stack: false
    .vgpr_count:     20
    .vgpr_spill_count: 0
    .wavefront_size: 32
  - .args:
      - .offset:         0
        .size:           4
        .value_kind:     by_value
      - .address_space:  global
        .offset:         8
        .size:           8
        .value_kind:     global_buffer
      - .address_space:  global
        .offset:         16
        .size:           8
        .value_kind:     global_buffer
      - .address_space:  global
        .offset:         24
        .size:           8
        .value_kind:     global_buffer
      - .offset:         32
        .size:           4
        .value_kind:     by_value
      - .offset:         36
        .size:           4
        .value_kind:     by_value
      - .offset:         40
        .size:           4
        .value_kind:     by_value
      - .offset:         48
        .size:           4
        .value_kind:     hidden_block_count_x
      - .offset:         52
        .size:           4
        .value_kind:     hidden_block_count_y
      - .offset:         56
        .size:           4
        .value_kind:     hidden_block_count_z
      - .offset:         60
        .size:           2
        .value_kind:     hidden_group_size_x
      - .offset:         62
        .size:           2
        .value_kind:     hidden_group_size_y
      - .offset:         64
        .size:           2
        .value_kind:     hidden_group_size_z
      - .offset:         66
        .size:           2
        .value_kind:     hidden_remainder_x
      - .offset:         68
        .size:           2
        .value_kind:     hidden_remainder_y
      - .offset:         70
        .size:           2
        .value_kind:     hidden_remainder_z
      - .offset:         88
        .size:           8
        .value_kind:     hidden_global_offset_x
      - .offset:         96
        .size:           8
        .value_kind:     hidden_global_offset_y
      - .offset:         104
        .size:           8
        .value_kind:     hidden_global_offset_z
      - .offset:         112
        .size:           2
        .value_kind:     hidden_grid_dims
    .group_segment_fixed_size: 0
    .kernarg_segment_align: 8
    .kernarg_segment_size: 304
    .language:       OpenCL C
    .language_version:
      - 2
      - 0
    .max_flat_workgroup_size: 1024
    .name:           _Z12cross_kernelIdiEviPT_PKS0_S3_T0_S4_S4_
    .private_segment_fixed_size: 0
    .sgpr_count:     24
    .sgpr_spill_count: 0
    .symbol:         _Z12cross_kernelIdiEviPT_PKS0_S3_T0_S4_S4_.kd
    .uniform_work_group_size: 1
    .uses_dynamic_stack: false
    .vgpr_count:     26
    .vgpr_spill_count: 0
    .wavefront_size: 32
  - .args:
      - .offset:         0
        .size:           4
        .value_kind:     by_value
      - .address_space:  global
        .offset:         8
        .size:           8
        .value_kind:     global_buffer
      - .address_space:  global
        .offset:         16
        .size:           8
        .value_kind:     global_buffer
      - .address_space:  global
        .offset:         24
        .size:           8
        .value_kind:     global_buffer
      - .offset:         32
        .size:           4
        .value_kind:     by_value
      - .offset:         36
        .size:           4
        .value_kind:     by_value
      - .offset:         40
        .size:           4
        .value_kind:     by_value
      - .offset:         48
        .size:           4
        .value_kind:     hidden_block_count_x
      - .offset:         52
        .size:           4
        .value_kind:     hidden_block_count_y
      - .offset:         56
        .size:           4
        .value_kind:     hidden_block_count_z
      - .offset:         60
        .size:           2
        .value_kind:     hidden_group_size_x
      - .offset:         62
        .size:           2
        .value_kind:     hidden_group_size_y
      - .offset:         64
        .size:           2
        .value_kind:     hidden_group_size_z
      - .offset:         66
        .size:           2
        .value_kind:     hidden_remainder_x
      - .offset:         68
        .size:           2
        .value_kind:     hidden_remainder_y
      - .offset:         70
        .size:           2
        .value_kind:     hidden_remainder_z
      - .offset:         88
        .size:           8
        .value_kind:     hidden_global_offset_x
      - .offset:         96
        .size:           8
        .value_kind:     hidden_global_offset_y
      - .offset:         104
        .size:           8
        .value_kind:     hidden_global_offset_z
      - .offset:         112
        .size:           2
        .value_kind:     hidden_grid_dims
    .group_segment_fixed_size: 0
    .kernarg_segment_align: 8
    .kernarg_segment_size: 304
    .language:       OpenCL C
    .language_version:
      - 2
      - 0
    .max_flat_workgroup_size: 1024
    .name:           _Z13cross2_kernelIdiEviPT_PKS0_S3_T0_S4_S4_
    .private_segment_fixed_size: 0
    .sgpr_count:     24
    .sgpr_spill_count: 0
    .symbol:         _Z13cross2_kernelIdiEviPT_PKS0_S3_T0_S4_S4_.kd
    .uniform_work_group_size: 1
    .uses_dynamic_stack: false
    .vgpr_count:     26
    .vgpr_spill_count: 0
    .wavefront_size: 32
  - .args:
      - .offset:         0
        .size:           4
        .value_kind:     by_value
      - .address_space:  global
        .offset:         8
        .size:           8
        .value_kind:     global_buffer
      - .address_space:  global
        .offset:         16
        .size:           8
        .value_kind:     global_buffer
      - .address_space:  global
        .offset:         24
        .size:           8
        .value_kind:     global_buffer
      - .offset:         32
        .size:           4
        .value_kind:     hidden_block_count_x
      - .offset:         36
        .size:           4
        .value_kind:     hidden_block_count_y
      - .offset:         40
        .size:           4
        .value_kind:     hidden_block_count_z
      - .offset:         44
        .size:           2
        .value_kind:     hidden_group_size_x
      - .offset:         46
        .size:           2
        .value_kind:     hidden_group_size_y
      - .offset:         48
        .size:           2
        .value_kind:     hidden_group_size_z
      - .offset:         50
        .size:           2
        .value_kind:     hidden_remainder_x
      - .offset:         52
        .size:           2
        .value_kind:     hidden_remainder_y
      - .offset:         54
        .size:           2
        .value_kind:     hidden_remainder_z
      - .offset:         72
        .size:           8
        .value_kind:     hidden_global_offset_x
      - .offset:         80
        .size:           8
        .value_kind:     hidden_global_offset_y
      - .offset:         88
        .size:           8
        .value_kind:     hidden_global_offset_z
      - .offset:         96
        .size:           2
        .value_kind:     hidden_grid_dims
    .group_segment_fixed_size: 0
    .kernarg_segment_align: 8
    .kernarg_segment_size: 288
    .language:       OpenCL C
    .language_version:
      - 2
      - 0
    .max_flat_workgroup_size: 1024
    .name:           _Z13cross3_kernelIdEviPT_PKS0_S3_
    .private_segment_fixed_size: 0
    .sgpr_count:     16
    .sgpr_spill_count: 0
    .symbol:         _Z13cross3_kernelIdEviPT_PKS0_S3_.kd
    .uniform_work_group_size: 1
    .uses_dynamic_stack: false
    .vgpr_count:     24
    .vgpr_spill_count: 0
    .wavefront_size: 32
amdhsa.target:   amdgcn-amd-amdhsa--gfx1250
amdhsa.version:
  - 1
  - 2
...

	.end_amdgpu_metadata
